;; amdgpu-corpus repo=ROCm/rocFFT kind=compiled arch=gfx906 opt=O3
	.text
	.amdgcn_target "amdgcn-amd-amdhsa--gfx906"
	.amdhsa_code_object_version 6
	.protected	fft_rtc_back_len864_factors_3_6_16_3_wgs_54_tpt_54_halfLds_dp_op_CI_CI_unitstride_sbrr_C2R_dirReg ; -- Begin function fft_rtc_back_len864_factors_3_6_16_3_wgs_54_tpt_54_halfLds_dp_op_CI_CI_unitstride_sbrr_C2R_dirReg
	.globl	fft_rtc_back_len864_factors_3_6_16_3_wgs_54_tpt_54_halfLds_dp_op_CI_CI_unitstride_sbrr_C2R_dirReg
	.p2align	8
	.type	fft_rtc_back_len864_factors_3_6_16_3_wgs_54_tpt_54_halfLds_dp_op_CI_CI_unitstride_sbrr_C2R_dirReg,@function
fft_rtc_back_len864_factors_3_6_16_3_wgs_54_tpt_54_halfLds_dp_op_CI_CI_unitstride_sbrr_C2R_dirReg: ; @fft_rtc_back_len864_factors_3_6_16_3_wgs_54_tpt_54_halfLds_dp_op_CI_CI_unitstride_sbrr_C2R_dirReg
; %bb.0:
	s_load_dwordx4 s[8:11], s[4:5], 0x58
	s_load_dwordx4 s[12:15], s[4:5], 0x0
	;; [unrolled: 1-line block ×3, first 2 shown]
	v_mul_u32_u24_e32 v1, 0x4be, v0
	v_add_u32_sdwa v5, s6, v1 dst_sel:DWORD dst_unused:UNUSED_PAD src0_sel:DWORD src1_sel:WORD_1
	v_mov_b32_e32 v3, 0
	s_waitcnt lgkmcnt(0)
	v_cmp_lt_u64_e64 s[0:1], s[14:15], 2
	v_mov_b32_e32 v1, 0
	v_mov_b32_e32 v6, v3
	s_and_b64 vcc, exec, s[0:1]
	v_mov_b32_e32 v2, 0
	s_cbranch_vccnz .LBB0_8
; %bb.1:
	s_load_dwordx2 s[0:1], s[4:5], 0x10
	s_add_u32 s2, s18, 8
	s_addc_u32 s3, s19, 0
	s_add_u32 s6, s16, 8
	v_mov_b32_e32 v1, 0
	s_addc_u32 s7, s17, 0
	v_mov_b32_e32 v2, 0
	s_waitcnt lgkmcnt(0)
	s_add_u32 s20, s0, 8
	v_mov_b32_e32 v73, v2
	s_addc_u32 s21, s1, 0
	s_mov_b64 s[22:23], 1
	v_mov_b32_e32 v72, v1
.LBB0_2:                                ; =>This Inner Loop Header: Depth=1
	s_load_dwordx2 s[24:25], s[20:21], 0x0
                                        ; implicit-def: $vgpr76_vgpr77
	s_waitcnt lgkmcnt(0)
	v_or_b32_e32 v4, s25, v6
	v_cmp_ne_u64_e32 vcc, 0, v[3:4]
	s_and_saveexec_b64 s[0:1], vcc
	s_xor_b64 s[26:27], exec, s[0:1]
	s_cbranch_execz .LBB0_4
; %bb.3:                                ;   in Loop: Header=BB0_2 Depth=1
	v_cvt_f32_u32_e32 v4, s24
	v_cvt_f32_u32_e32 v7, s25
	s_sub_u32 s0, 0, s24
	s_subb_u32 s1, 0, s25
	v_mac_f32_e32 v4, 0x4f800000, v7
	v_rcp_f32_e32 v4, v4
	v_mul_f32_e32 v4, 0x5f7ffffc, v4
	v_mul_f32_e32 v7, 0x2f800000, v4
	v_trunc_f32_e32 v7, v7
	v_mac_f32_e32 v4, 0xcf800000, v7
	v_cvt_u32_f32_e32 v7, v7
	v_cvt_u32_f32_e32 v4, v4
	v_mul_lo_u32 v8, s0, v7
	v_mul_hi_u32 v9, s0, v4
	v_mul_lo_u32 v11, s1, v4
	v_mul_lo_u32 v10, s0, v4
	v_add_u32_e32 v8, v9, v8
	v_add_u32_e32 v8, v8, v11
	v_mul_hi_u32 v9, v4, v10
	v_mul_lo_u32 v11, v4, v8
	v_mul_hi_u32 v13, v4, v8
	v_mul_hi_u32 v12, v7, v10
	v_mul_lo_u32 v10, v7, v10
	v_mul_hi_u32 v14, v7, v8
	v_add_co_u32_e32 v9, vcc, v9, v11
	v_addc_co_u32_e32 v11, vcc, 0, v13, vcc
	v_mul_lo_u32 v8, v7, v8
	v_add_co_u32_e32 v9, vcc, v9, v10
	v_addc_co_u32_e32 v9, vcc, v11, v12, vcc
	v_addc_co_u32_e32 v10, vcc, 0, v14, vcc
	v_add_co_u32_e32 v8, vcc, v9, v8
	v_addc_co_u32_e32 v9, vcc, 0, v10, vcc
	v_add_co_u32_e32 v4, vcc, v4, v8
	v_addc_co_u32_e32 v7, vcc, v7, v9, vcc
	v_mul_lo_u32 v8, s0, v7
	v_mul_hi_u32 v9, s0, v4
	v_mul_lo_u32 v10, s1, v4
	v_mul_lo_u32 v11, s0, v4
	v_add_u32_e32 v8, v9, v8
	v_add_u32_e32 v8, v8, v10
	v_mul_lo_u32 v12, v4, v8
	v_mul_hi_u32 v13, v4, v11
	v_mul_hi_u32 v14, v4, v8
	v_mul_hi_u32 v10, v7, v11
	v_mul_lo_u32 v11, v7, v11
	v_mul_hi_u32 v9, v7, v8
	v_add_co_u32_e32 v12, vcc, v13, v12
	v_addc_co_u32_e32 v13, vcc, 0, v14, vcc
	v_mul_lo_u32 v8, v7, v8
	v_add_co_u32_e32 v11, vcc, v12, v11
	v_addc_co_u32_e32 v10, vcc, v13, v10, vcc
	v_addc_co_u32_e32 v9, vcc, 0, v9, vcc
	v_add_co_u32_e32 v8, vcc, v10, v8
	v_addc_co_u32_e32 v9, vcc, 0, v9, vcc
	v_add_co_u32_e32 v4, vcc, v4, v8
	v_addc_co_u32_e32 v9, vcc, v7, v9, vcc
	v_mad_u64_u32 v[7:8], s[0:1], v5, v9, 0
	v_mul_hi_u32 v10, v5, v4
	v_add_co_u32_e32 v11, vcc, v10, v7
	v_addc_co_u32_e32 v12, vcc, 0, v8, vcc
	v_mad_u64_u32 v[7:8], s[0:1], v6, v4, 0
	v_mad_u64_u32 v[9:10], s[0:1], v6, v9, 0
	v_add_co_u32_e32 v4, vcc, v11, v7
	v_addc_co_u32_e32 v4, vcc, v12, v8, vcc
	v_addc_co_u32_e32 v7, vcc, 0, v10, vcc
	v_add_co_u32_e32 v4, vcc, v4, v9
	v_addc_co_u32_e32 v9, vcc, 0, v7, vcc
	v_mul_lo_u32 v10, s25, v4
	v_mul_lo_u32 v11, s24, v9
	v_mad_u64_u32 v[7:8], s[0:1], s24, v4, 0
	v_add3_u32 v8, v8, v11, v10
	v_sub_u32_e32 v10, v6, v8
	v_mov_b32_e32 v11, s25
	v_sub_co_u32_e32 v7, vcc, v5, v7
	v_subb_co_u32_e64 v10, s[0:1], v10, v11, vcc
	v_subrev_co_u32_e64 v11, s[0:1], s24, v7
	v_subbrev_co_u32_e64 v10, s[0:1], 0, v10, s[0:1]
	v_cmp_le_u32_e64 s[0:1], s25, v10
	v_cndmask_b32_e64 v12, 0, -1, s[0:1]
	v_cmp_le_u32_e64 s[0:1], s24, v11
	v_cndmask_b32_e64 v11, 0, -1, s[0:1]
	v_cmp_eq_u32_e64 s[0:1], s25, v10
	v_cndmask_b32_e64 v10, v12, v11, s[0:1]
	v_add_co_u32_e64 v11, s[0:1], 2, v4
	v_addc_co_u32_e64 v12, s[0:1], 0, v9, s[0:1]
	v_add_co_u32_e64 v13, s[0:1], 1, v4
	v_addc_co_u32_e64 v14, s[0:1], 0, v9, s[0:1]
	v_subb_co_u32_e32 v8, vcc, v6, v8, vcc
	v_cmp_ne_u32_e64 s[0:1], 0, v10
	v_cmp_le_u32_e32 vcc, s25, v8
	v_cndmask_b32_e64 v10, v14, v12, s[0:1]
	v_cndmask_b32_e64 v12, 0, -1, vcc
	v_cmp_le_u32_e32 vcc, s24, v7
	v_cndmask_b32_e64 v7, 0, -1, vcc
	v_cmp_eq_u32_e32 vcc, s25, v8
	v_cndmask_b32_e32 v7, v12, v7, vcc
	v_cmp_ne_u32_e32 vcc, 0, v7
	v_cndmask_b32_e64 v7, v13, v11, s[0:1]
	v_cndmask_b32_e32 v77, v9, v10, vcc
	v_cndmask_b32_e32 v76, v4, v7, vcc
.LBB0_4:                                ;   in Loop: Header=BB0_2 Depth=1
	s_andn2_saveexec_b64 s[0:1], s[26:27]
	s_cbranch_execz .LBB0_6
; %bb.5:                                ;   in Loop: Header=BB0_2 Depth=1
	v_cvt_f32_u32_e32 v4, s24
	s_sub_i32 s26, 0, s24
	v_mov_b32_e32 v77, v3
	v_rcp_iflag_f32_e32 v4, v4
	v_mul_f32_e32 v4, 0x4f7ffffe, v4
	v_cvt_u32_f32_e32 v4, v4
	v_mul_lo_u32 v7, s26, v4
	v_mul_hi_u32 v7, v4, v7
	v_add_u32_e32 v4, v4, v7
	v_mul_hi_u32 v4, v5, v4
	v_mul_lo_u32 v7, v4, s24
	v_add_u32_e32 v8, 1, v4
	v_sub_u32_e32 v7, v5, v7
	v_subrev_u32_e32 v9, s24, v7
	v_cmp_le_u32_e32 vcc, s24, v7
	v_cndmask_b32_e32 v7, v7, v9, vcc
	v_cndmask_b32_e32 v4, v4, v8, vcc
	v_add_u32_e32 v8, 1, v4
	v_cmp_le_u32_e32 vcc, s24, v7
	v_cndmask_b32_e32 v76, v4, v8, vcc
.LBB0_6:                                ;   in Loop: Header=BB0_2 Depth=1
	s_or_b64 exec, exec, s[0:1]
	v_mul_lo_u32 v4, v77, s24
	v_mul_lo_u32 v9, v76, s25
	v_mad_u64_u32 v[7:8], s[0:1], v76, s24, 0
	s_load_dwordx2 s[0:1], s[6:7], 0x0
	s_load_dwordx2 s[24:25], s[2:3], 0x0
	v_add3_u32 v4, v8, v9, v4
	v_sub_co_u32_e32 v5, vcc, v5, v7
	v_subb_co_u32_e32 v4, vcc, v6, v4, vcc
	s_waitcnt lgkmcnt(0)
	v_mul_lo_u32 v6, s0, v4
	v_mul_lo_u32 v7, s1, v5
	v_mad_u64_u32 v[1:2], s[0:1], s0, v5, v[1:2]
	v_mul_lo_u32 v4, s24, v4
	v_mul_lo_u32 v8, s25, v5
	v_mad_u64_u32 v[72:73], s[0:1], s24, v5, v[72:73]
	s_add_u32 s22, s22, 1
	s_addc_u32 s23, s23, 0
	s_add_u32 s2, s2, 8
	v_add3_u32 v73, v8, v73, v4
	s_addc_u32 s3, s3, 0
	v_mov_b32_e32 v4, s14
	s_add_u32 s6, s6, 8
	v_mov_b32_e32 v5, s15
	s_addc_u32 s7, s7, 0
	v_cmp_ge_u64_e32 vcc, s[22:23], v[4:5]
	s_add_u32 s20, s20, 8
	v_add3_u32 v2, v7, v2, v6
	s_addc_u32 s21, s21, 0
	s_cbranch_vccnz .LBB0_9
; %bb.7:                                ;   in Loop: Header=BB0_2 Depth=1
	v_mov_b32_e32 v5, v76
	v_mov_b32_e32 v6, v77
	s_branch .LBB0_2
.LBB0_8:
	v_mov_b32_e32 v73, v2
	v_mov_b32_e32 v77, v6
	;; [unrolled: 1-line block ×4, first 2 shown]
.LBB0_9:
	s_load_dwordx2 s[2:3], s[4:5], 0x28
	s_lshl_b64 s[6:7], s[14:15], 3
	s_add_u32 s4, s18, s6
	s_addc_u32 s5, s19, s7
                                        ; implicit-def: $vgpr74
	s_waitcnt lgkmcnt(0)
	v_cmp_gt_u64_e64 s[0:1], s[2:3], v[76:77]
	v_cmp_le_u64_e32 vcc, s[2:3], v[76:77]
	s_and_saveexec_b64 s[2:3], vcc
	s_xor_b64 s[2:3], exec, s[2:3]
; %bb.10:
	s_mov_b32 s14, 0x4bda130
	v_mul_hi_u32 v1, v0, s14
	v_mul_u32_u24_e32 v1, 54, v1
	v_sub_u32_e32 v74, v0, v1
                                        ; implicit-def: $vgpr0
                                        ; implicit-def: $vgpr1_vgpr2
; %bb.11:
	s_or_saveexec_b64 s[2:3], s[2:3]
	s_load_dwordx2 s[4:5], s[4:5], 0x0
	s_xor_b64 exec, exec, s[2:3]
	s_cbranch_execz .LBB0_15
; %bb.12:
	s_add_u32 s6, s16, s6
	s_addc_u32 s7, s17, s7
	s_load_dwordx2 s[6:7], s[6:7], 0x0
	s_mov_b32 s14, 0x4bda130
	v_mul_hi_u32 v5, v0, s14
	v_lshlrev_b64 v[1:2], 4, v[1:2]
	s_waitcnt lgkmcnt(0)
	v_mul_lo_u32 v6, s7, v76
	v_mul_lo_u32 v7, s6, v77
	v_mad_u64_u32 v[3:4], s[6:7], s6, v76, 0
	v_mul_u32_u24_e32 v5, 54, v5
	v_sub_u32_e32 v74, v0, v5
	v_add3_u32 v4, v4, v7, v6
	v_lshlrev_b64 v[3:4], 4, v[3:4]
	v_mov_b32_e32 v0, s9
	v_add_co_u32_e32 v3, vcc, s8, v3
	v_addc_co_u32_e32 v0, vcc, v0, v4, vcc
	v_add_co_u32_e32 v1, vcc, v3, v1
	v_addc_co_u32_e32 v0, vcc, v0, v2, vcc
	v_lshlrev_b32_e32 v75, 4, v74
	v_add_co_u32_e32 v34, vcc, v1, v75
	v_addc_co_u32_e32 v35, vcc, 0, v0, vcc
	s_movk_i32 s6, 0x1000
	v_add_co_u32_e32 v66, vcc, s6, v34
	v_addc_co_u32_e32 v67, vcc, 0, v35, vcc
	s_movk_i32 s6, 0x2000
	v_add_co_u32_e32 v68, vcc, s6, v34
	v_addc_co_u32_e32 v69, vcc, 0, v35, vcc
	v_add_co_u32_e32 v70, vcc, 0x3000, v34
	global_load_dwordx4 v[2:5], v[34:35], off
	global_load_dwordx4 v[6:9], v[34:35], off offset:864
	global_load_dwordx4 v[10:13], v[34:35], off offset:1728
	;; [unrolled: 1-line block ×7, first 2 shown]
	v_addc_co_u32_e32 v71, vcc, 0, v35, vcc
	global_load_dwordx4 v[34:37], v[66:67], off offset:2816
	global_load_dwordx4 v[38:41], v[66:67], off offset:3680
	;; [unrolled: 1-line block ×8, first 2 shown]
	v_add_u32_e32 v66, 0, v75
	v_cmp_eq_u32_e32 vcc, 53, v74
	s_waitcnt vmcnt(15)
	ds_write_b128 v66, v[2:5]
	s_waitcnt vmcnt(14)
	ds_write_b128 v66, v[6:9] offset:864
	s_waitcnt vmcnt(13)
	ds_write_b128 v66, v[10:13] offset:1728
	;; [unrolled: 2-line block ×15, first 2 shown]
	s_and_saveexec_b64 s[6:7], vcc
	s_cbranch_execz .LBB0_14
; %bb.13:
	v_add_co_u32_e32 v1, vcc, 0x3000, v1
	v_addc_co_u32_e32 v2, vcc, 0, v0, vcc
	global_load_dwordx4 v[0:3], v[1:2], off offset:1536
	v_mov_b32_e32 v4, 0
	v_mov_b32_e32 v74, 53
	s_waitcnt vmcnt(0)
	ds_write_b128 v4, v[0:3] offset:13824
.LBB0_14:
	s_or_b64 exec, exec, s[6:7]
.LBB0_15:
	s_or_b64 exec, exec, s[2:3]
	v_lshlrev_b32_e32 v0, 4, v74
	v_add_u32_e32 v80, 0, v0
	s_waitcnt lgkmcnt(0)
	; wave barrier
	s_waitcnt lgkmcnt(0)
	v_sub_u32_e32 v10, 0, v0
	ds_read_b64 v[6:7], v80
	ds_read_b64 v[8:9], v10 offset:13824
	s_add_u32 s6, s12, 0x35d0
	s_addc_u32 s7, s13, 0
	v_cmp_ne_u32_e32 vcc, 0, v74
                                        ; implicit-def: $vgpr4_vgpr5
	s_waitcnt lgkmcnt(0)
	v_add_f64 v[0:1], v[6:7], v[8:9]
	v_add_f64 v[2:3], v[6:7], -v[8:9]
	s_and_saveexec_b64 s[2:3], vcc
	s_xor_b64 s[2:3], exec, s[2:3]
	s_cbranch_execz .LBB0_17
; %bb.16:
	v_mov_b32_e32 v75, 0
	v_lshlrev_b64 v[0:1], 4, v[74:75]
	v_mov_b32_e32 v2, s7
	v_add_co_u32_e32 v0, vcc, s6, v0
	v_addc_co_u32_e32 v1, vcc, v2, v1, vcc
	global_load_dwordx4 v[2:5], v[0:1], off
	ds_read_b64 v[0:1], v10 offset:13832
	ds_read_b64 v[11:12], v80 offset:8
	v_add_f64 v[13:14], v[6:7], v[8:9]
	v_add_f64 v[8:9], v[6:7], -v[8:9]
	s_waitcnt lgkmcnt(0)
	v_add_f64 v[15:16], v[0:1], v[11:12]
	v_add_f64 v[0:1], v[11:12], -v[0:1]
	s_waitcnt vmcnt(0)
	v_fma_f64 v[6:7], -v[8:9], v[4:5], v[13:14]
	v_fma_f64 v[11:12], v[15:16], v[4:5], -v[0:1]
	v_fma_f64 v[13:14], v[8:9], v[4:5], v[13:14]
	v_fma_f64 v[17:18], v[15:16], v[4:5], v[0:1]
	v_fma_f64 v[4:5], v[15:16], v[2:3], v[6:7]
	v_fma_f64 v[6:7], v[8:9], v[2:3], v[11:12]
	v_fma_f64 v[0:1], -v[15:16], v[2:3], v[13:14]
	v_fma_f64 v[2:3], v[8:9], v[2:3], v[17:18]
	ds_write_b128 v10, v[4:7] offset:13824
	v_mov_b32_e32 v4, v74
	v_mov_b32_e32 v5, v75
.LBB0_17:
	s_andn2_saveexec_b64 s[2:3], s[2:3]
	s_cbranch_execz .LBB0_19
; %bb.18:
	v_mov_b32_e32 v8, 0
	ds_read_b128 v[4:7], v8 offset:6912
	s_waitcnt lgkmcnt(0)
	v_add_f64 v[11:12], v[4:5], v[4:5]
	v_mul_f64 v[13:14], v[6:7], -2.0
	v_mov_b32_e32 v4, 0
	v_mov_b32_e32 v5, 0
	ds_write_b128 v8, v[11:14] offset:6912
.LBB0_19:
	s_or_b64 exec, exec, s[2:3]
	v_lshlrev_b64 v[4:5], 4, v[4:5]
	v_mov_b32_e32 v6, s7
	v_add_co_u32_e32 v23, vcc, s6, v4
	v_addc_co_u32_e32 v24, vcc, v6, v5, vcc
	global_load_dwordx4 v[4:7], v[23:24], off offset:864
	global_load_dwordx4 v[11:14], v[23:24], off offset:1728
	ds_write_b128 v80, v[0:3]
	ds_read_b128 v[0:3], v80 offset:864
	ds_read_b128 v[15:18], v10 offset:12960
	global_load_dwordx4 v[19:22], v[23:24], off offset:2592
	s_movk_i32 s2, 0x1000
	s_mov_b32 s7, 0x3febb67a
	s_waitcnt lgkmcnt(0)
	v_add_f64 v[8:9], v[0:1], v[15:16]
	v_add_f64 v[25:26], v[17:18], v[2:3]
	v_add_f64 v[15:16], v[0:1], -v[15:16]
	v_add_f64 v[0:1], v[2:3], -v[17:18]
	s_waitcnt vmcnt(2)
	v_fma_f64 v[2:3], v[15:16], v[6:7], v[8:9]
	v_fma_f64 v[17:18], v[25:26], v[6:7], v[0:1]
	v_fma_f64 v[8:9], -v[15:16], v[6:7], v[8:9]
	v_fma_f64 v[27:28], v[25:26], v[6:7], -v[0:1]
	v_fma_f64 v[0:1], -v[25:26], v[4:5], v[2:3]
	v_fma_f64 v[2:3], v[15:16], v[4:5], v[17:18]
	v_fma_f64 v[6:7], v[25:26], v[4:5], v[8:9]
	;; [unrolled: 1-line block ×3, first 2 shown]
	ds_write_b128 v80, v[0:3] offset:864
	ds_write_b128 v10, v[6:9] offset:12960
	ds_read_b128 v[0:3], v80 offset:1728
	ds_read_b128 v[4:7], v10 offset:12096
	global_load_dwordx4 v[15:18], v[23:24], off offset:3456
	s_waitcnt lgkmcnt(0)
	v_add_f64 v[8:9], v[0:1], v[4:5]
	v_add_f64 v[25:26], v[6:7], v[2:3]
	v_add_f64 v[27:28], v[0:1], -v[4:5]
	v_add_f64 v[0:1], v[2:3], -v[6:7]
	s_waitcnt vmcnt(2)
	v_fma_f64 v[2:3], v[27:28], v[13:14], v[8:9]
	v_fma_f64 v[4:5], v[25:26], v[13:14], v[0:1]
	v_fma_f64 v[6:7], -v[27:28], v[13:14], v[8:9]
	v_fma_f64 v[8:9], v[25:26], v[13:14], -v[0:1]
	v_fma_f64 v[0:1], -v[25:26], v[11:12], v[2:3]
	v_fma_f64 v[2:3], v[27:28], v[11:12], v[4:5]
	v_fma_f64 v[4:5], v[25:26], v[11:12], v[6:7]
	;; [unrolled: 1-line block ×3, first 2 shown]
	v_add_co_u32_e32 v8, vcc, s2, v23
	ds_write_b128 v80, v[0:3] offset:1728
	ds_write_b128 v10, v[4:7] offset:12096
	v_addc_co_u32_e32 v9, vcc, 0, v24, vcc
	ds_read_b128 v[0:3], v80 offset:2592
	ds_read_b128 v[4:7], v10 offset:11232
	global_load_dwordx4 v[11:14], v[8:9], off offset:224
	s_mov_b32 s2, 0xe8584caa
	s_mov_b32 s3, 0xbfebb67a
	;; [unrolled: 1-line block ×3, first 2 shown]
	s_waitcnt lgkmcnt(0)
	v_add_f64 v[23:24], v[0:1], v[4:5]
	v_add_f64 v[25:26], v[6:7], v[2:3]
	v_add_f64 v[27:28], v[0:1], -v[4:5]
	v_add_f64 v[0:1], v[2:3], -v[6:7]
	v_cmp_gt_u32_e32 vcc, 18, v74
	s_waitcnt vmcnt(2)
	v_fma_f64 v[2:3], v[27:28], v[21:22], v[23:24]
	v_fma_f64 v[4:5], v[25:26], v[21:22], v[0:1]
	v_fma_f64 v[6:7], -v[27:28], v[21:22], v[23:24]
	v_fma_f64 v[21:22], v[25:26], v[21:22], -v[0:1]
	v_fma_f64 v[0:1], -v[25:26], v[19:20], v[2:3]
	v_fma_f64 v[2:3], v[27:28], v[19:20], v[4:5]
	v_fma_f64 v[4:5], v[25:26], v[19:20], v[6:7]
	;; [unrolled: 1-line block ×3, first 2 shown]
	ds_write_b128 v80, v[0:3] offset:2592
	ds_write_b128 v10, v[4:7] offset:11232
	ds_read_b128 v[0:3], v80 offset:3456
	ds_read_b128 v[4:7], v10 offset:10368
	global_load_dwordx4 v[19:22], v[8:9], off offset:1088
	s_waitcnt lgkmcnt(0)
	v_add_f64 v[23:24], v[0:1], v[4:5]
	v_add_f64 v[25:26], v[6:7], v[2:3]
	v_add_f64 v[27:28], v[0:1], -v[4:5]
	v_add_f64 v[0:1], v[2:3], -v[6:7]
	s_waitcnt vmcnt(2)
	v_fma_f64 v[2:3], v[27:28], v[17:18], v[23:24]
	v_fma_f64 v[4:5], v[25:26], v[17:18], v[0:1]
	v_fma_f64 v[6:7], -v[27:28], v[17:18], v[23:24]
	v_fma_f64 v[17:18], v[25:26], v[17:18], -v[0:1]
	v_fma_f64 v[0:1], -v[25:26], v[15:16], v[2:3]
	v_fma_f64 v[2:3], v[27:28], v[15:16], v[4:5]
	v_fma_f64 v[4:5], v[25:26], v[15:16], v[6:7]
	;; [unrolled: 1-line block ×3, first 2 shown]
	ds_write_b128 v80, v[0:3] offset:3456
	ds_write_b128 v10, v[4:7] offset:10368
	ds_read_b128 v[0:3], v80 offset:4320
	ds_read_b128 v[4:7], v10 offset:9504
	global_load_dwordx4 v[15:18], v[8:9], off offset:1952
	s_waitcnt lgkmcnt(0)
	v_add_f64 v[8:9], v[0:1], v[4:5]
	v_add_f64 v[23:24], v[6:7], v[2:3]
	v_add_f64 v[25:26], v[0:1], -v[4:5]
	v_add_f64 v[0:1], v[2:3], -v[6:7]
	s_waitcnt vmcnt(2)
	v_fma_f64 v[2:3], v[25:26], v[13:14], v[8:9]
	v_fma_f64 v[4:5], v[23:24], v[13:14], v[0:1]
	v_fma_f64 v[6:7], -v[25:26], v[13:14], v[8:9]
	v_fma_f64 v[8:9], v[23:24], v[13:14], -v[0:1]
	v_fma_f64 v[0:1], -v[23:24], v[11:12], v[2:3]
	v_fma_f64 v[2:3], v[25:26], v[11:12], v[4:5]
	v_fma_f64 v[4:5], v[23:24], v[11:12], v[6:7]
	;; [unrolled: 1-line block ×3, first 2 shown]
	ds_write_b128 v80, v[0:3] offset:4320
	ds_write_b128 v10, v[4:7] offset:9504
	ds_read_b128 v[0:3], v80 offset:5184
	ds_read_b128 v[4:7], v10 offset:8640
	s_waitcnt lgkmcnt(0)
	v_add_f64 v[8:9], v[0:1], v[4:5]
	v_add_f64 v[11:12], v[6:7], v[2:3]
	v_add_f64 v[13:14], v[0:1], -v[4:5]
	v_add_f64 v[0:1], v[2:3], -v[6:7]
	s_waitcnt vmcnt(1)
	v_fma_f64 v[2:3], v[13:14], v[21:22], v[8:9]
	v_fma_f64 v[4:5], v[11:12], v[21:22], v[0:1]
	v_fma_f64 v[6:7], -v[13:14], v[21:22], v[8:9]
	v_fma_f64 v[8:9], v[11:12], v[21:22], -v[0:1]
	v_fma_f64 v[0:1], -v[11:12], v[19:20], v[2:3]
	v_fma_f64 v[2:3], v[13:14], v[19:20], v[4:5]
	v_fma_f64 v[4:5], v[11:12], v[19:20], v[6:7]
	;; [unrolled: 1-line block ×3, first 2 shown]
	ds_write_b128 v80, v[0:3] offset:5184
	ds_write_b128 v10, v[4:7] offset:8640
	ds_read_b128 v[0:3], v80 offset:6048
	ds_read_b128 v[4:7], v10 offset:7776
	s_waitcnt lgkmcnt(0)
	v_add_f64 v[8:9], v[0:1], v[4:5]
	v_add_f64 v[11:12], v[6:7], v[2:3]
	v_add_f64 v[13:14], v[0:1], -v[4:5]
	v_add_f64 v[0:1], v[2:3], -v[6:7]
	s_waitcnt vmcnt(0)
	v_fma_f64 v[2:3], v[13:14], v[17:18], v[8:9]
	v_fma_f64 v[4:5], v[11:12], v[17:18], v[0:1]
	v_fma_f64 v[6:7], -v[13:14], v[17:18], v[8:9]
	v_fma_f64 v[8:9], v[11:12], v[17:18], -v[0:1]
	v_fma_f64 v[0:1], -v[11:12], v[15:16], v[2:3]
	v_fma_f64 v[2:3], v[13:14], v[15:16], v[4:5]
	v_fma_f64 v[4:5], v[11:12], v[15:16], v[6:7]
	;; [unrolled: 1-line block ×3, first 2 shown]
	ds_write_b128 v80, v[0:3] offset:6048
	ds_write_b128 v10, v[4:7] offset:7776
	s_waitcnt lgkmcnt(0)
	; wave barrier
	s_waitcnt lgkmcnt(0)
	s_waitcnt lgkmcnt(0)
	; wave barrier
	s_waitcnt lgkmcnt(0)
	ds_read_b128 v[0:3], v80
	ds_read_b128 v[4:7], v80 offset:864
	ds_read_b128 v[8:11], v80 offset:4608
	;; [unrolled: 1-line block ×17, first 2 shown]
	s_waitcnt lgkmcnt(14)
	v_add_f64 v[69:70], v[0:1], v[8:9]
	v_add_f64 v[78:79], v[2:3], v[10:11]
	s_waitcnt lgkmcnt(13)
	v_add_f64 v[85:86], v[8:9], v[17:18]
	v_add_f64 v[87:88], v[10:11], -v[19:20]
	v_add_f64 v[10:11], v[10:11], v[19:20]
	v_add_f64 v[89:90], v[8:9], -v[17:18]
	v_add_f64 v[8:9], v[4:5], v[12:13]
	v_add_f64 v[91:92], v[6:7], v[14:15]
	s_waitcnt lgkmcnt(12)
	v_add_f64 v[93:94], v[12:13], v[21:22]
	v_add_f64 v[95:96], v[14:15], -v[23:24]
	v_add_f64 v[97:98], v[14:15], v[23:24]
	s_waitcnt lgkmcnt(9)
	v_add_f64 v[14:15], v[27:28], v[35:36]
	s_waitcnt lgkmcnt(7)
	;; [unrolled: 2-line block ×3, first 2 shown]
	v_add_f64 v[121:122], v[49:50], v[57:58]
	v_add_f64 v[123:124], v[51:52], v[59:60]
	s_waitcnt lgkmcnt(1)
	v_add_f64 v[125:126], v[57:58], v[65:66]
	v_add_f64 v[127:128], v[59:60], -v[67:68]
	v_add_f64 v[59:60], v[59:60], v[67:68]
	v_add_f64 v[129:130], v[57:58], -v[65:66]
	s_waitcnt lgkmcnt(0)
	v_add_f64 v[57:58], v[61:62], v[81:82]
	v_add_f64 v[131:132], v[63:64], v[83:84]
	v_add_f64 v[99:100], v[12:13], -v[21:22]
	v_add_f64 v[12:13], v[25:26], v[33:34]
	v_add_f64 v[109:110], v[29:30], v[37:38]
	;; [unrolled: 1-line block ×6, first 2 shown]
	v_add_f64 v[103:104], v[35:36], -v[43:44]
	v_add_f64 v[107:108], v[33:34], -v[41:42]
	;; [unrolled: 1-line block ×3, first 2 shown]
	v_add_f64 v[17:18], v[69:70], v[17:18]
	v_add_f64 v[19:20], v[78:79], v[19:20]
	;; [unrolled: 1-line block ×4, first 2 shown]
	v_add_f64 v[133:134], v[63:64], -v[83:84]
	v_add_f64 v[135:136], v[61:62], -v[81:82]
	v_add_f64 v[33:34], v[8:9], v[21:22]
	v_add_f64 v[35:36], v[91:92], v[23:24]
	;; [unrolled: 1-line block ×4, first 2 shown]
	v_fma_f64 v[21:22], v[85:86], -0.5, v[0:1]
	v_fma_f64 v[23:24], v[10:11], -0.5, v[2:3]
	v_fma_f64 v[4:5], v[93:94], -0.5, v[4:5]
	v_fma_f64 v[6:7], v[97:98], -0.5, v[6:7]
	v_fma_f64 v[25:26], v[101:102], -0.5, v[25:26]
	v_fma_f64 v[67:68], v[125:126], -0.5, v[49:50]
	v_fma_f64 v[85:86], v[59:60], -0.5, v[51:52]
	v_fma_f64 v[91:92], v[57:58], -0.5, v[53:54]
	v_fma_f64 v[93:94], v[131:132], -0.5, v[55:56]
	v_add_f64 v[119:120], v[37:38], -v[45:46]
	v_add_f64 v[37:38], v[12:13], v[41:42]
	v_add_f64 v[41:42], v[109:110], v[45:46]
	;; [unrolled: 1-line block ×3, first 2 shown]
	v_fma_f64 v[61:62], v[105:106], -0.5, v[27:28]
	v_add_f64 v[12:13], v[121:122], v[65:66]
	v_fma_f64 v[63:64], v[113:114], -0.5, v[29:30]
	v_fma_f64 v[65:66], v[117:118], -0.5, v[31:32]
	v_lshl_add_u32 v16, v74, 5, v80
	s_waitcnt lgkmcnt(0)
	; wave barrier
	v_add_f64 v[10:11], v[69:70], v[83:84]
	v_add_f64 v[8:9], v[78:79], v[81:82]
	v_fma_f64 v[0:1], v[87:88], s[2:3], v[21:22]
	v_fma_f64 v[28:29], v[87:88], s[6:7], v[21:22]
	;; [unrolled: 1-line block ×14, first 2 shown]
	ds_write_b128 v16, v[17:20]
	ds_write_b128 v16, v[33:36] offset:2592
	ds_write_b128 v16, v[37:40] offset:5184
	;; [unrolled: 1-line block ×3, first 2 shown]
	v_fma_f64 v[70:71], v[133:134], s[2:3], v[91:92]
	v_fma_f64 v[20:21], v[133:134], s[6:7], v[91:92]
	;; [unrolled: 1-line block ×10, first 2 shown]
	v_add_u32_e32 v75, 0x2888, v16
	v_add_u32_e32 v137, 0x2898, v16
	ds_write_b64 v16, v[8:9] offset:10368
	ds_write_b128 v16, v[0:3] offset:16
	ds_write_b128 v16, v[28:31] offset:32
	;; [unrolled: 1-line block ×8, first 2 shown]
	ds_write2_b64 v75, v[10:11], v[70:71] offset1:1
	ds_write2_b64 v137, v[68:69], v[20:21] offset1:1
	ds_write_b64 v16, v[22:23] offset:10408
	s_and_saveexec_b64 s[2:3], vcc
	s_cbranch_execz .LBB0_21
; %bb.20:
	ds_write_b128 v16, v[12:15] offset:12960
	ds_write_b128 v16, v[24:27] offset:12976
	;; [unrolled: 1-line block ×3, first 2 shown]
.LBB0_21:
	s_or_b64 exec, exec, s[2:3]
	s_waitcnt lgkmcnt(0)
	; wave barrier
	s_waitcnt lgkmcnt(0)
	ds_read_b128 v[16:19], v80
	ds_read_b128 v[0:3], v80 offset:864
	ds_read_b128 v[64:67], v80 offset:2304
	;; [unrolled: 1-line block ×11, first 2 shown]
	v_cmp_gt_u32_e64 s[2:3], 36, v74
	s_and_saveexec_b64 s[6:7], s[2:3]
	s_cbranch_execz .LBB0_23
; %bb.22:
	ds_read_b128 v[8:11], v80 offset:1728
	ds_read_b128 v[81:84], v80 offset:4032
	;; [unrolled: 1-line block ×6, first 2 shown]
	s_waitcnt lgkmcnt(4)
	v_mov_b32_e32 v68, v83
	v_mov_b32_e32 v70, v81
	;; [unrolled: 1-line block ×4, first 2 shown]
.LBB0_23:
	s_or_b64 exec, exec, s[6:7]
	s_movk_i32 s6, 0xab
	v_mul_lo_u16_sdwa v75, v74, s6 dst_sel:DWORD dst_unused:UNUSED_PAD src0_sel:BYTE_0 src1_sel:DWORD
	v_lshrrev_b16_e32 v78, 9, v75
	v_mul_lo_u16_e32 v75, 3, v78
	v_sub_u16_e32 v79, v74, v75
	v_mov_b32_e32 v118, 5
	v_mul_u32_u24_sdwa v75, v79, v118 dst_sel:DWORD dst_unused:UNUSED_PAD src0_sel:BYTE_0 src1_sel:DWORD
	v_lshlrev_b32_e32 v75, 4, v75
	global_load_dwordx4 v[86:89], v75, s[12:13]
	global_load_dwordx4 v[90:93], v75, s[12:13] offset:16
	global_load_dwordx4 v[94:97], v75, s[12:13] offset:32
	;; [unrolled: 1-line block ×4, first 2 shown]
	v_add_u32_e32 v81, 54, v74
	v_mul_lo_u16_sdwa v75, v81, s6 dst_sel:DWORD dst_unused:UNUSED_PAD src0_sel:BYTE_0 src1_sel:DWORD
	v_lshrrev_b16_e32 v82, 9, v75
	v_mul_lo_u16_e32 v75, 3, v82
	v_sub_u16_e32 v84, v81, v75
	v_mul_u32_u24_sdwa v75, v84, v118 dst_sel:DWORD dst_unused:UNUSED_PAD src0_sel:BYTE_0 src1_sel:DWORD
	v_lshlrev_b32_e32 v122, 4, v75
	global_load_dwordx4 v[106:109], v122, s[12:13]
	global_load_dwordx4 v[110:113], v122, s[12:13] offset:16
	v_add_u32_e32 v75, 0x6c, v74
	v_mul_lo_u16_sdwa v83, v75, s6 dst_sel:DWORD dst_unused:UNUSED_PAD src0_sel:BYTE_0 src1_sel:DWORD
	v_lshrrev_b16_e32 v83, 9, v83
	v_mul_lo_u16_e32 v85, 3, v83
	v_sub_u16_e32 v85, v75, v85
	v_mul_u32_u24_sdwa v123, v85, v118 dst_sel:DWORD dst_unused:UNUSED_PAD src0_sel:BYTE_0 src1_sel:DWORD
	v_lshlrev_b32_e32 v123, 4, v123
	s_mov_b32 s6, 0xe8584caa
	s_mov_b32 s7, 0xbfebb67a
	;; [unrolled: 1-line block ×4, first 2 shown]
	s_waitcnt vmcnt(6) lgkmcnt(9)
	v_mul_f64 v[114:115], v[66:67], v[88:89]
	v_mul_f64 v[88:89], v[64:65], v[88:89]
	s_waitcnt vmcnt(5) lgkmcnt(7)
	v_mul_f64 v[116:117], v[62:63], v[92:93]
	v_mul_f64 v[92:93], v[60:61], v[92:93]
	v_fma_f64 v[114:115], v[64:65], v[86:87], v[114:115]
	v_fma_f64 v[118:119], v[66:67], v[86:87], -v[88:89]
	s_waitcnt vmcnt(4) lgkmcnt(5)
	v_mul_f64 v[86:87], v[58:59], v[96:97]
	v_mul_f64 v[88:89], v[56:57], v[96:97]
	global_load_dwordx4 v[64:67], v122, s[12:13] offset:32
	v_fma_f64 v[96:97], v[60:61], v[90:91], v[116:117]
	v_fma_f64 v[90:91], v[62:63], v[90:91], -v[92:93]
	s_waitcnt vmcnt(4) lgkmcnt(3)
	v_mul_f64 v[92:93], v[54:55], v[100:101]
	v_mul_f64 v[100:101], v[52:53], v[100:101]
	s_waitcnt vmcnt(3) lgkmcnt(1)
	v_mul_f64 v[116:117], v[50:51], v[104:105]
	v_fma_f64 v[120:121], v[56:57], v[94:95], v[86:87]
	v_fma_f64 v[94:95], v[58:59], v[94:95], -v[88:89]
	global_load_dwordx4 v[56:59], v122, s[12:13] offset:48
	v_mul_f64 v[86:87], v[48:49], v[104:105]
	global_load_dwordx4 v[60:63], v122, s[12:13] offset:64
	v_fma_f64 v[92:93], v[52:53], v[98:99], v[92:93]
	v_fma_f64 v[98:99], v[54:55], v[98:99], -v[100:101]
	s_waitcnt vmcnt(4)
	v_mul_f64 v[88:89], v[46:47], v[108:109]
	v_mul_f64 v[100:101], v[44:45], v[108:109]
	s_waitcnt vmcnt(3)
	v_mul_f64 v[108:109], v[42:43], v[112:113]
	v_mul_f64 v[112:113], v[40:41], v[112:113]
	v_fma_f64 v[104:105], v[48:49], v[102:103], v[116:117]
	v_fma_f64 v[102:103], v[50:51], v[102:103], -v[86:87]
	global_load_dwordx4 v[48:51], v123, s[12:13]
	global_load_dwordx4 v[52:55], v123, s[12:13] offset:16
	v_fma_f64 v[116:117], v[44:45], v[106:107], v[88:89]
	v_fma_f64 v[100:101], v[46:47], v[106:107], -v[100:101]
	global_load_dwordx4 v[44:47], v123, s[12:13] offset:32
	global_load_dwordx4 v[86:89], v123, s[12:13] offset:48
	v_fma_f64 v[106:107], v[40:41], v[110:111], v[108:109]
	v_fma_f64 v[108:109], v[42:43], v[110:111], -v[112:113]
	global_load_dwordx4 v[40:43], v123, s[12:13] offset:64
	s_waitcnt lgkmcnt(0)
	; wave barrier
	s_waitcnt vmcnt(7) lgkmcnt(0)
	v_mul_f64 v[110:111], v[38:39], v[66:67]
	v_mul_f64 v[66:67], v[36:37], v[66:67]
	s_waitcnt vmcnt(6)
	v_mul_f64 v[112:113], v[34:35], v[58:59]
	v_fma_f64 v[36:37], v[36:37], v[64:65], v[110:111]
	v_fma_f64 v[38:39], v[38:39], v[64:65], -v[66:67]
	v_mul_f64 v[58:59], v[32:33], v[58:59]
	s_waitcnt vmcnt(5)
	v_mul_f64 v[64:65], v[30:31], v[62:63]
	v_mul_f64 v[62:63], v[28:29], v[62:63]
	v_fma_f64 v[110:111], v[32:33], v[56:57], v[112:113]
	s_waitcnt vmcnt(4)
	v_mul_f64 v[66:67], v[68:69], v[50:51]
	v_fma_f64 v[112:113], v[34:35], v[56:57], -v[58:59]
	v_mul_f64 v[32:33], v[70:71], v[50:51]
	s_waitcnt vmcnt(3)
	v_mul_f64 v[34:35], v[22:23], v[54:55]
	v_mul_f64 v[50:51], v[20:21], v[54:55]
	s_waitcnt vmcnt(2)
	v_mul_f64 v[54:55], v[14:15], v[46:47]
	v_fma_f64 v[122:123], v[28:29], v[60:61], v[64:65]
	v_fma_f64 v[124:125], v[30:31], v[60:61], -v[62:63]
	v_mul_f64 v[46:47], v[12:13], v[46:47]
	s_waitcnt vmcnt(0)
	v_mul_f64 v[60:61], v[6:7], v[42:43]
	v_mul_f64 v[42:43], v[4:5], v[42:43]
	v_fma_f64 v[20:21], v[20:21], v[52:53], v[34:35]
	v_mul_f64 v[56:57], v[26:27], v[88:89]
	v_mul_f64 v[58:59], v[24:25], v[88:89]
	v_fma_f64 v[30:31], v[68:69], v[48:49], -v[32:33]
	v_fma_f64 v[32:33], v[22:23], v[52:53], -v[50:51]
	;; [unrolled: 1-line block ×3, first 2 shown]
	v_fma_f64 v[14:15], v[4:5], v[40:41], v[60:61]
	v_add_f64 v[4:5], v[94:95], v[102:103]
	v_fma_f64 v[22:23], v[12:13], v[44:45], v[54:55]
	v_add_f64 v[44:45], v[96:97], v[92:93]
	v_add_f64 v[52:53], v[120:121], v[104:105]
	v_add_f64 v[54:55], v[120:121], -v[104:105]
	v_fma_f64 v[28:29], v[70:71], v[48:49], v[66:67]
	v_fma_f64 v[12:13], v[24:25], v[86:87], v[56:57]
	v_fma_f64 v[24:25], v[26:27], v[86:87], -v[58:59]
	v_fma_f64 v[4:5], v[4:5], -0.5, v[118:119]
	v_add_f64 v[26:27], v[16:17], v[96:97]
	v_add_f64 v[48:49], v[18:19], v[90:91]
	;; [unrolled: 1-line block ×4, first 2 shown]
	v_add_f64 v[60:61], v[94:95], -v[102:103]
	v_fma_f64 v[52:53], v[52:53], -0.5, v[114:115]
	v_fma_f64 v[16:17], v[44:45], -0.5, v[16:17]
	v_fma_f64 v[44:45], v[54:55], s[8:9], v[4:5]
	v_fma_f64 v[4:5], v[54:55], s[6:7], v[4:5]
	v_add_f64 v[46:47], v[90:91], -v[98:99]
	v_add_f64 v[56:57], v[96:97], -v[92:93]
	v_add_f64 v[62:63], v[118:119], v[94:95]
	v_add_f64 v[26:27], v[26:27], v[92:93]
	v_add_f64 v[67:68], v[48:49], v[98:99]
	v_fma_f64 v[18:19], v[50:51], -0.5, v[18:19]
	v_add_f64 v[64:65], v[58:59], v[104:105]
	v_fma_f64 v[48:49], v[60:61], s[6:7], v[52:53]
	v_fma_f64 v[50:51], v[60:61], s[8:9], v[52:53]
	v_mul_f64 v[52:53], v[44:45], s[6:7]
	v_mul_f64 v[54:55], v[4:5], s[6:7]
	v_mul_f64 v[44:45], v[44:45], 0.5
	v_mul_f64 v[4:5], v[4:5], -0.5
	v_add_f64 v[69:70], v[62:63], v[102:103]
	v_fma_f64 v[86:87], v[46:47], s[6:7], v[16:17]
	v_fma_f64 v[46:47], v[46:47], s[8:9], v[16:17]
	;; [unrolled: 1-line block ×4, first 2 shown]
	v_fma_f64 v[90:91], v[48:49], 0.5, v[52:53]
	v_fma_f64 v[92:93], v[50:51], -0.5, v[54:55]
	v_fma_f64 v[44:45], v[48:49], s[8:9], v[44:45]
	v_fma_f64 v[4:5], v[50:51], s[8:9], v[4:5]
	v_fma_f64 v[16:17], v[6:7], v[40:41], -v[42:43]
	v_add_f64 v[6:7], v[106:107], v[110:111]
	v_add_f64 v[49:50], v[26:27], v[64:65]
	v_add_f64 v[61:62], v[26:27], -v[64:65]
	v_add_f64 v[26:27], v[38:39], v[124:125]
	v_add_f64 v[51:52], v[67:68], v[69:70]
	;; [unrolled: 1-line block ×4, first 2 shown]
	v_add_f64 v[63:64], v[67:68], -v[69:70]
	v_add_f64 v[40:41], v[0:1], v[106:107]
	v_fma_f64 v[0:1], v[6:7], -0.5, v[0:1]
	v_add_f64 v[6:7], v[108:109], -v[112:113]
	v_add_f64 v[42:43], v[36:37], v[122:123]
	v_add_f64 v[67:68], v[88:89], -v[44:45]
	v_fma_f64 v[26:27], v[26:27], -0.5, v[100:101]
	v_add_f64 v[44:45], v[36:37], -v[122:123]
	v_add_f64 v[88:89], v[18:19], -v[4:5]
	v_add_f64 v[18:19], v[108:109], v[112:113]
	v_add_f64 v[53:54], v[86:87], v[90:91]
	v_add_f64 v[57:58], v[46:47], v[92:93]
	v_add_f64 v[65:66], v[86:87], -v[90:91]
	v_add_f64 v[86:87], v[46:47], -v[92:93]
	v_add_f64 v[4:5], v[40:41], v[110:111]
	v_fma_f64 v[40:41], v[6:7], s[6:7], v[0:1]
	v_fma_f64 v[42:43], v[42:43], -0.5, v[116:117]
	v_add_f64 v[46:47], v[38:39], -v[124:125]
	v_fma_f64 v[0:1], v[6:7], s[8:9], v[0:1]
	v_fma_f64 v[6:7], v[44:45], s[8:9], v[26:27]
	;; [unrolled: 1-line block ×3, first 2 shown]
	v_add_f64 v[44:45], v[2:3], v[108:109]
	v_fma_f64 v[2:3], v[18:19], -0.5, v[2:3]
	v_add_f64 v[18:19], v[106:107], -v[110:111]
	v_add_f64 v[36:37], v[116:117], v[36:37]
	v_fma_f64 v[69:70], v[46:47], s[6:7], v[42:43]
	v_fma_f64 v[42:43], v[46:47], s[8:9], v[42:43]
	v_mul_f64 v[46:47], v[6:7], s[6:7]
	v_mul_f64 v[90:91], v[26:27], s[6:7]
	v_add_f64 v[38:39], v[100:101], v[38:39]
	v_mul_f64 v[6:7], v[6:7], 0.5
	v_fma_f64 v[108:109], v[18:19], s[8:9], v[2:3]
	v_mul_f64 v[26:27], v[26:27], -0.5
	v_fma_f64 v[2:3], v[18:19], s[6:7], v[2:3]
	v_add_f64 v[18:19], v[34:35], v[16:17]
	v_add_f64 v[104:105], v[44:45], v[112:113]
	;; [unrolled: 1-line block ×3, first 2 shown]
	v_fma_f64 v[44:45], v[69:70], 0.5, v[46:47]
	v_add_f64 v[112:113], v[38:39], v[124:125]
	v_fma_f64 v[6:7], v[69:70], s[8:9], v[6:7]
	v_fma_f64 v[69:70], v[42:43], s[8:9], v[26:27]
	v_add_f64 v[26:27], v[22:23], v[14:15]
	v_fma_f64 v[18:19], v[18:19], -0.5, v[30:31]
	v_add_f64 v[38:39], v[22:23], -v[14:15]
	v_fma_f64 v[110:111], v[42:43], -0.5, v[90:91]
	v_add_f64 v[90:91], v[4:5], v[36:37]
	v_add_f64 v[94:95], v[40:41], v[44:45]
	;; [unrolled: 1-line block ×3, first 2 shown]
	v_add_f64 v[102:103], v[4:5], -v[36:37]
	v_add_f64 v[4:5], v[32:33], v[24:25]
	v_fma_f64 v[26:27], v[26:27], -0.5, v[28:29]
	v_add_f64 v[36:37], v[34:35], -v[16:17]
	v_add_f64 v[106:107], v[40:41], -v[44:45]
	v_fma_f64 v[40:41], v[38:39], s[8:9], v[18:19]
	v_fma_f64 v[18:19], v[38:39], s[6:7], v[18:19]
	v_fma_f64 v[38:39], v[42:43], -0.5, v[8:9]
	v_add_f64 v[42:43], v[32:33], -v[24:25]
	v_fma_f64 v[4:5], v[4:5], -0.5, v[10:11]
	v_add_f64 v[44:45], v[20:21], -v[12:13]
	v_fma_f64 v[46:47], v[36:37], s[6:7], v[26:27]
	v_fma_f64 v[114:115], v[36:37], s[8:9], v[26:27]
	v_mul_f64 v[36:37], v[40:41], s[6:7]
	v_mul_f64 v[116:117], v[18:19], s[6:7]
	v_mul_f64 v[118:119], v[40:41], 0.5
	v_mul_f64 v[120:121], v[18:19], -0.5
	v_fma_f64 v[18:19], v[42:43], s[6:7], v[38:39]
	v_fma_f64 v[26:27], v[42:43], s[8:9], v[38:39]
	;; [unrolled: 1-line block ×4, first 2 shown]
	v_fma_f64 v[36:37], v[46:47], 0.5, v[36:37]
	v_fma_f64 v[38:39], v[114:115], -0.5, v[116:117]
	v_fma_f64 v[44:45], v[46:47], s[8:9], v[118:119]
	v_fma_f64 v[46:47], v[114:115], s[8:9], v[120:121]
	v_add_f64 v[98:99], v[0:1], v[110:111]
	v_add_f64 v[92:93], v[104:105], v[112:113]
	v_add_f64 v[96:97], v[108:109], v[6:7]
	v_add_f64 v[100:101], v[2:3], v[69:70]
	v_add_f64 v[110:111], v[0:1], -v[110:111]
	v_add_f64 v[104:105], v[104:105], -v[112:113]
	;; [unrolled: 1-line block ×8, first 2 shown]
	v_mov_b32_e32 v48, 4
	v_mul_u32_u24_e32 v69, 0x120, v78
	v_lshlrev_b32_sdwa v70, v48, v79 dst_sel:DWORD dst_unused:UNUSED_PAD src0_sel:DWORD src1_sel:BYTE_0
	v_add3_u32 v69, 0, v69, v70
	ds_write_b128 v69, v[49:52]
	ds_write_b128 v69, v[53:56] offset:48
	ds_write_b128 v69, v[57:60] offset:96
	;; [unrolled: 1-line block ×5, first 2 shown]
	v_mul_u32_u24_e32 v49, 0x120, v82
	v_lshlrev_b32_sdwa v50, v48, v84 dst_sel:DWORD dst_unused:UNUSED_PAD src0_sel:DWORD src1_sel:BYTE_0
	v_add3_u32 v49, 0, v49, v50
	ds_write_b128 v49, v[90:93]
	ds_write_b128 v49, v[94:97] offset:48
	ds_write_b128 v49, v[98:101] offset:96
	;; [unrolled: 1-line block ×5, first 2 shown]
	s_and_saveexec_b64 s[6:7], s[2:3]
	s_cbranch_execz .LBB0_25
; %bb.24:
	v_add_f64 v[10:11], v[10:11], v[32:33]
	v_add_f64 v[30:31], v[30:31], v[34:35]
	;; [unrolled: 1-line block ×12, first 2 shown]
	v_add_f64 v[18:19], v[22:23], -v[16:17]
	v_add_f64 v[22:23], v[22:23], v[16:17]
	v_add_f64 v[20:21], v[24:25], v[28:29]
	v_add_f64 v[16:17], v[24:25], -v[28:29]
	v_mul_u32_u24_e32 v24, 0x120, v83
	v_lshlrev_b32_sdwa v25, v48, v85 dst_sel:DWORD dst_unused:UNUSED_PAD src0_sel:DWORD src1_sel:BYTE_0
	v_add3_u32 v24, 0, v24, v25
	ds_write_b128 v24, v[0:3] offset:192
	ds_write_b128 v24, v[12:15] offset:48
	;; [unrolled: 1-line block ×3, first 2 shown]
	ds_write_b128 v24, v[20:23]
	ds_write_b128 v24, v[16:19] offset:144
	ds_write_b128 v24, v[4:7] offset:240
.LBB0_25:
	s_or_b64 exec, exec, s[6:7]
	v_mov_b32_e32 v24, 57
	v_mul_lo_u16_sdwa v24, v74, v24 dst_sel:DWORD dst_unused:UNUSED_PAD src0_sel:BYTE_0 src1_sel:DWORD
	v_lshrrev_b16_e32 v26, 10, v24
	v_mul_lo_u16_e32 v24, 18, v26
	v_sub_u16_e32 v27, v74, v24
	v_mov_b32_e32 v24, 15
	v_mul_u32_u24_sdwa v24, v27, v24 dst_sel:DWORD dst_unused:UNUSED_PAD src0_sel:BYTE_0 src1_sel:DWORD
	v_lshlrev_b32_e32 v102, 4, v24
	s_waitcnt lgkmcnt(0)
	; wave barrier
	s_waitcnt lgkmcnt(0)
	ds_read_b128 v[8:11], v80
	ds_read_b128 v[28:31], v80 offset:864
	ds_read_b128 v[32:35], v80 offset:1728
	;; [unrolled: 1-line block ×15, first 2 shown]
	global_load_dwordx4 v[86:89], v102, s[12:13] offset:288
	global_load_dwordx4 v[90:93], v102, s[12:13] offset:272
	;; [unrolled: 1-line block ×4, first 2 shown]
	s_mov_b32 s2, 0x667f3bcd
	s_mov_b32 s3, 0xbfe6a09e
	;; [unrolled: 1-line block ×12, first 2 shown]
	s_waitcnt vmcnt(0) lgkmcnt(14)
	v_mul_f64 v[24:25], v[30:31], v[100:101]
	v_fma_f64 v[78:79], v[28:29], v[98:99], v[24:25]
	v_mul_f64 v[24:25], v[28:29], v[100:101]
	s_waitcnt lgkmcnt(12)
	v_mul_f64 v[28:29], v[36:37], v[92:93]
	v_fma_f64 v[98:99], v[30:31], v[98:99], -v[24:25]
	v_mul_f64 v[24:25], v[34:35], v[96:97]
	v_fma_f64 v[100:101], v[32:33], v[94:95], v[24:25]
	v_mul_f64 v[24:25], v[32:33], v[96:97]
	v_fma_f64 v[94:95], v[34:35], v[94:95], -v[24:25]
	v_mul_f64 v[24:25], v[38:39], v[92:93]
	v_fma_f64 v[24:25], v[36:37], v[90:91], v[24:25]
	v_fma_f64 v[90:91], v[38:39], v[90:91], -v[28:29]
	s_waitcnt lgkmcnt(11)
	v_mul_f64 v[28:29], v[42:43], v[88:89]
	v_fma_f64 v[92:93], v[40:41], v[86:87], v[28:29]
	v_mul_f64 v[28:29], v[40:41], v[88:89]
	v_fma_f64 v[86:87], v[42:43], v[86:87], -v[28:29]
	global_load_dwordx4 v[28:31], v102, s[12:13] offset:352
	global_load_dwordx4 v[32:35], v102, s[12:13] offset:336
	;; [unrolled: 1-line block ×4, first 2 shown]
	s_waitcnt vmcnt(0) lgkmcnt(10)
	v_mul_f64 v[88:89], v[46:47], v[42:43]
	v_mul_f64 v[42:43], v[44:45], v[42:43]
	v_fma_f64 v[88:89], v[44:45], v[40:41], v[88:89]
	v_fma_f64 v[44:45], v[46:47], v[40:41], -v[42:43]
	s_waitcnt lgkmcnt(9)
	v_mul_f64 v[40:41], v[50:51], v[38:39]
	v_mul_f64 v[38:39], v[48:49], v[38:39]
	v_fma_f64 v[46:47], v[48:49], v[36:37], v[40:41]
	v_fma_f64 v[48:49], v[50:51], v[36:37], -v[38:39]
	s_waitcnt lgkmcnt(8)
	;; [unrolled: 5-line block ×3, first 2 shown]
	v_mul_f64 v[32:33], v[58:59], v[30:31]
	v_mul_f64 v[30:31], v[56:57], v[30:31]
	v_fma_f64 v[54:55], v[56:57], v[28:29], v[32:33]
	v_fma_f64 v[56:57], v[58:59], v[28:29], -v[30:31]
	global_load_dwordx4 v[28:31], v102, s[12:13] offset:416
	global_load_dwordx4 v[32:35], v102, s[12:13] offset:400
	;; [unrolled: 1-line block ×4, first 2 shown]
	s_waitcnt vmcnt(0) lgkmcnt(6)
	v_mul_f64 v[58:59], v[62:63], v[42:43]
	v_mul_f64 v[42:43], v[60:61], v[42:43]
	v_fma_f64 v[58:59], v[60:61], v[40:41], v[58:59]
	v_fma_f64 v[40:41], v[62:63], v[40:41], -v[42:43]
	s_waitcnt lgkmcnt(5)
	v_mul_f64 v[42:43], v[66:67], v[38:39]
	v_mul_f64 v[38:39], v[64:65], v[38:39]
	v_add_f64 v[58:59], v[78:79], -v[58:59]
	v_add_f64 v[40:41], v[98:99], -v[40:41]
	v_fma_f64 v[42:43], v[64:65], v[36:37], v[42:43]
	v_fma_f64 v[60:61], v[66:67], v[36:37], -v[38:39]
	s_waitcnt lgkmcnt(4)
	v_mul_f64 v[36:37], v[70:71], v[34:35]
	v_mul_f64 v[34:35], v[68:69], v[34:35]
	v_fma_f64 v[62:63], v[68:69], v[32:33], v[36:37]
	v_fma_f64 v[64:65], v[70:71], v[32:33], -v[34:35]
	s_waitcnt lgkmcnt(3)
	v_mul_f64 v[32:33], v[84:85], v[30:31]
	v_mul_f64 v[30:31], v[82:83], v[30:31]
	v_add_f64 v[62:63], v[24:25], -v[62:63]
	v_add_f64 v[64:65], v[90:91], -v[64:65]
	v_fma_f64 v[66:67], v[82:83], v[28:29], v[32:33]
	v_fma_f64 v[68:69], v[84:85], v[28:29], -v[30:31]
	global_load_dwordx4 v[28:31], v102, s[12:13] offset:464
	global_load_dwordx4 v[32:35], v102, s[12:13] offset:448
	;; [unrolled: 1-line block ×3, first 2 shown]
	s_waitcnt lgkmcnt(0)
	; wave barrier
	s_waitcnt lgkmcnt(0)
	v_fma_f64 v[24:25], v[24:25], 2.0, -v[62:63]
	s_waitcnt vmcnt(0)
	v_mul_f64 v[70:71], v[22:23], v[38:39]
	v_fma_f64 v[70:71], v[20:21], v[36:37], v[70:71]
	v_mul_f64 v[20:21], v[20:21], v[38:39]
	v_add_f64 v[38:39], v[100:101], -v[42:43]
	v_add_f64 v[42:43], v[94:95], -v[60:61]
	v_fma_f64 v[60:61], v[78:79], 2.0, -v[58:59]
	v_fma_f64 v[78:79], v[90:91], 2.0, -v[64:65]
	v_fma_f64 v[20:21], v[22:23], v[36:37], -v[20:21]
	v_mul_f64 v[22:23], v[18:19], v[34:35]
	v_add_f64 v[20:21], v[44:45], -v[20:21]
	v_fma_f64 v[22:23], v[16:17], v[32:33], v[22:23]
	v_mul_f64 v[16:17], v[16:17], v[34:35]
	v_fma_f64 v[44:45], v[44:45], 2.0, -v[20:21]
	v_add_f64 v[22:23], v[46:47], -v[22:23]
	v_fma_f64 v[16:17], v[18:19], v[32:33], -v[16:17]
	v_mul_f64 v[18:19], v[14:15], v[30:31]
	v_add_f64 v[32:33], v[86:87], -v[68:69]
	v_add_f64 v[68:69], v[88:89], -v[70:71]
	v_add_f64 v[20:21], v[58:59], v[20:21]
	v_fma_f64 v[46:47], v[46:47], 2.0, -v[22:23]
	v_add_f64 v[16:17], v[48:49], -v[16:17]
	v_fma_f64 v[18:19], v[12:13], v[28:29], v[18:19]
	v_mul_f64 v[12:13], v[12:13], v[30:31]
	v_add_f64 v[30:31], v[92:93], -v[66:67]
	v_fma_f64 v[36:37], v[86:87], 2.0, -v[32:33]
	v_add_f64 v[22:23], v[42:43], -v[22:23]
	v_fma_f64 v[66:67], v[98:99], 2.0, -v[40:41]
	v_fma_f64 v[70:71], v[88:89], 2.0, -v[68:69]
	v_fma_f64 v[48:49], v[48:49], 2.0, -v[16:17]
	v_add_f64 v[16:17], v[38:39], v[16:17]
	v_fma_f64 v[12:13], v[14:15], v[28:29], -v[12:13]
	v_add_f64 v[14:15], v[8:9], -v[54:55]
	v_add_f64 v[28:29], v[10:11], -v[56:57]
	v_fma_f64 v[34:35], v[92:93], 2.0, -v[30:31]
	v_fma_f64 v[54:55], v[100:101], 2.0, -v[38:39]
	;; [unrolled: 1-line block ×3, first 2 shown]
	v_add_f64 v[18:19], v[50:51], -v[18:19]
	v_fma_f64 v[38:39], v[38:39], 2.0, -v[16:17]
	v_add_f64 v[12:13], v[52:53], -v[12:13]
	v_add_f64 v[32:33], v[14:15], v[32:33]
	v_add_f64 v[30:31], v[28:29], -v[30:31]
	v_fma_f64 v[8:9], v[8:9], 2.0, -v[14:15]
	v_fma_f64 v[10:11], v[10:11], 2.0, -v[28:29]
	;; [unrolled: 1-line block ×4, first 2 shown]
	v_add_f64 v[46:47], v[54:55], -v[46:47]
	v_fma_f64 v[52:53], v[52:53], 2.0, -v[12:13]
	v_fma_f64 v[14:15], v[14:15], 2.0, -v[32:33]
	;; [unrolled: 1-line block ×3, first 2 shown]
	v_add_f64 v[34:35], v[8:9], -v[34:35]
	v_add_f64 v[36:37], v[10:11], -v[36:37]
	;; [unrolled: 1-line block ×6, first 2 shown]
	v_fma_f64 v[82:83], v[38:39], s[2:3], v[14:15]
	v_fma_f64 v[84:85], v[42:43], s[2:3], v[28:29]
	v_add_f64 v[50:51], v[24:25], -v[50:51]
	v_add_f64 v[52:53], v[78:79], -v[52:53]
	v_add_f64 v[12:13], v[62:63], v[12:13]
	v_add_f64 v[18:19], v[64:65], -v[18:19]
	v_fma_f64 v[8:9], v[8:9], 2.0, -v[34:35]
	v_fma_f64 v[10:11], v[10:11], 2.0, -v[36:37]
	v_fma_f64 v[82:83], v[42:43], s[6:7], v[82:83]
	v_fma_f64 v[84:85], v[38:39], s[2:3], v[84:85]
	v_fma_f64 v[54:55], v[54:55], 2.0, -v[46:47]
	v_fma_f64 v[56:57], v[56:57], 2.0, -v[48:49]
	;; [unrolled: 1-line block ×12, first 2 shown]
	v_fma_f64 v[14:15], v[16:17], s[6:7], v[32:33]
	v_fma_f64 v[28:29], v[22:23], s[6:7], v[30:31]
	v_add_f64 v[54:55], v[8:9], -v[54:55]
	v_add_f64 v[56:57], v[10:11], -v[56:57]
	v_add_f64 v[88:89], v[36:37], -v[46:47]
	v_add_f64 v[24:25], v[60:61], -v[24:25]
	v_add_f64 v[78:79], v[66:67], -v[78:79]
	v_add_f64 v[86:87], v[34:35], v[48:49]
	v_fma_f64 v[90:91], v[22:23], s[6:7], v[14:15]
	v_fma_f64 v[92:93], v[16:17], s[2:3], v[28:29]
	;; [unrolled: 1-line block ×4, first 2 shown]
	v_fma_f64 v[8:9], v[8:9], 2.0, -v[54:55]
	v_fma_f64 v[10:11], v[10:11], 2.0, -v[56:57]
	;; [unrolled: 1-line block ×5, first 2 shown]
	v_fma_f64 v[36:37], v[18:19], s[6:7], v[68:69]
	v_fma_f64 v[60:61], v[64:65], s[6:7], v[22:23]
	v_fma_f64 v[62:63], v[62:63], s[2:3], v[28:29]
	v_fma_f64 v[96:97], v[30:31], 2.0, -v[92:93]
	v_add_f64 v[66:67], v[70:71], v[52:53]
	v_add_f64 v[64:65], v[44:45], -v[50:51]
	v_fma_f64 v[30:31], v[12:13], s[6:7], v[20:21]
	v_fma_f64 v[46:47], v[34:35], 2.0, -v[86:87]
	v_fma_f64 v[100:101], v[12:13], s[2:3], v[36:37]
	v_fma_f64 v[22:23], v[58:59], 2.0, -v[60:61]
	v_fma_f64 v[28:29], v[40:41], 2.0, -v[62:63]
	v_add_f64 v[12:13], v[8:9], -v[14:15]
	v_add_f64 v[14:15], v[10:11], -v[16:17]
	v_fma_f64 v[94:95], v[32:33], 2.0, -v[90:91]
	v_fma_f64 v[34:35], v[70:71], 2.0, -v[66:67]
	v_fma_f64 v[32:33], v[44:45], 2.0, -v[64:65]
	v_fma_f64 v[98:99], v[18:19], s[6:7], v[30:31]
	v_fma_f64 v[40:41], v[68:69], 2.0, -v[100:101]
	v_add_f64 v[50:51], v[56:57], -v[24:25]
	v_fma_f64 v[16:17], v[8:9], 2.0, -v[12:13]
	v_fma_f64 v[18:19], v[10:11], 2.0, -v[14:15]
	v_fma_f64 v[8:9], v[22:23], s[16:17], v[38:39]
	v_fma_f64 v[10:11], v[28:29], s[16:17], v[42:43]
	v_mul_u32_u24_e32 v24, 0x120, v26
	v_fma_f64 v[44:45], v[20:21], 2.0, -v[98:99]
	v_or_b32_sdwa v24, v24, v27 dst_sel:DWORD dst_unused:UNUSED_PAD src0_sel:DWORD src1_sel:BYTE_0
	v_lshl_add_u32 v24, v24, 4, 0
	v_fma_f64 v[20:21], v[28:29], s[14:15], v[8:9]
	v_fma_f64 v[22:23], v[22:23], s[8:9], v[10:11]
	;; [unrolled: 1-line block ×4, first 2 shown]
	v_fma_f64 v[28:29], v[38:39], 2.0, -v[20:21]
	v_fma_f64 v[30:31], v[42:43], 2.0, -v[22:23]
	v_fma_f64 v[32:33], v[32:33], s[6:7], v[8:9]
	v_fma_f64 v[34:35], v[34:35], s[2:3], v[10:11]
	;; [unrolled: 1-line block ×4, first 2 shown]
	v_fma_f64 v[36:37], v[46:47], 2.0, -v[32:33]
	v_fma_f64 v[38:39], v[48:49], 2.0, -v[34:35]
	v_fma_f64 v[40:41], v[40:41], s[18:19], v[8:9]
	v_fma_f64 v[42:43], v[44:45], s[16:17], v[10:11]
	v_add_f64 v[48:49], v[54:55], v[78:79]
	v_fma_f64 v[8:9], v[60:61], s[14:15], v[82:83]
	v_fma_f64 v[10:11], v[62:63], s[14:15], v[84:85]
	v_fma_f64 v[44:45], v[94:95], 2.0, -v[40:41]
	v_fma_f64 v[46:47], v[96:97], 2.0, -v[42:43]
	;; [unrolled: 1-line block ×4, first 2 shown]
	v_fma_f64 v[56:57], v[62:63], s[18:19], v[8:9]
	v_fma_f64 v[58:59], v[60:61], s[16:17], v[10:11]
	;; [unrolled: 1-line block ×4, first 2 shown]
	v_fma_f64 v[60:61], v[82:83], 2.0, -v[56:57]
	v_fma_f64 v[62:63], v[84:85], 2.0, -v[58:59]
	v_fma_f64 v[64:65], v[64:65], s[6:7], v[8:9]
	v_fma_f64 v[66:67], v[66:67], s[2:3], v[10:11]
	;; [unrolled: 1-line block ×4, first 2 shown]
	v_fma_f64 v[68:69], v[86:87], 2.0, -v[64:65]
	v_fma_f64 v[70:71], v[88:89], 2.0, -v[66:67]
	v_fma_f64 v[8:9], v[100:101], s[14:15], v[8:9]
	v_fma_f64 v[10:11], v[98:99], s[8:9], v[10:11]
	v_fma_f64 v[82:83], v[90:91], 2.0, -v[8:9]
	v_fma_f64 v[84:85], v[92:93], 2.0, -v[10:11]
	ds_write_b128 v24, v[16:19]
	ds_write_b128 v24, v[28:31] offset:288
	ds_write_b128 v24, v[36:39] offset:576
	;; [unrolled: 1-line block ×15, first 2 shown]
	s_waitcnt lgkmcnt(0)
	; wave barrier
	s_waitcnt lgkmcnt(0)
	ds_read_b128 v[28:31], v80
	ds_read_b128 v[52:55], v80 offset:4608
	ds_read_b128 v[44:47], v80 offset:9216
	ds_read_b128 v[24:27], v80 offset:864
	ds_read_b128 v[60:63], v80 offset:5472
	ds_read_b128 v[48:51], v80 offset:10080
	ds_read_b128 v[20:23], v80 offset:1728
	ds_read_b128 v[64:67], v80 offset:6336
	ds_read_b128 v[56:59], v80 offset:10944
	ds_read_b128 v[12:15], v80 offset:2592
	ds_read_b128 v[68:71], v80 offset:7200
	ds_read_b128 v[32:35], v80 offset:11808
	ds_read_b128 v[16:19], v80 offset:3456
	ds_read_b128 v[40:43], v80 offset:8064
	ds_read_b128 v[36:39], v80 offset:12672
	s_and_saveexec_b64 s[2:3], vcc
	s_cbranch_execz .LBB0_27
; %bb.26:
	ds_read_b128 v[8:11], v80 offset:4320
	ds_read_b128 v[0:3], v80 offset:8928
	;; [unrolled: 1-line block ×3, first 2 shown]
.LBB0_27:
	s_or_b64 exec, exec, s[2:3]
	v_lshlrev_b32_e32 v78, 1, v74
	v_mov_b32_e32 v79, 0
	v_lshlrev_b64 v[82:83], 4, v[78:79]
	v_mov_b32_e32 v118, s13
	v_add_co_u32_e64 v82, s[2:3], s12, v82
	v_addc_co_u32_e64 v83, s[2:3], v118, v83, s[2:3]
	s_movk_i32 s6, 0x11d0
	v_add_co_u32_e64 v90, s[2:3], s6, v82
	v_addc_co_u32_e64 v91, s[2:3], 0, v83, s[2:3]
	s_movk_i32 s14, 0x1000
	v_add_co_u32_e64 v92, s[2:3], s14, v82
	v_addc_co_u32_e64 v93, s[2:3], 0, v83, s[2:3]
	global_load_dwordx4 v[82:85], v[92:93], off offset:464
	global_load_dwordx4 v[86:89], v[90:91], off offset:16
	v_lshlrev_b32_e32 v90, 1, v81
	v_mov_b32_e32 v91, v79
	v_lshlrev_b64 v[90:91], 4, v[90:91]
	s_mov_b32 s7, 0x3febb67a
	v_add_co_u32_e64 v81, s[2:3], s12, v90
	v_addc_co_u32_e64 v90, s[2:3], v118, v91, s[2:3]
	v_add_co_u32_e64 v98, s[2:3], s6, v81
	v_addc_co_u32_e64 v99, s[2:3], 0, v90, s[2:3]
	;; [unrolled: 2-line block ×3, first 2 shown]
	global_load_dwordx4 v[90:93], v[100:101], off offset:464
	global_load_dwordx4 v[94:97], v[98:99], off offset:16
	v_lshlrev_b32_e32 v98, 1, v75
	v_mov_b32_e32 v99, v79
	v_lshlrev_b64 v[98:99], 4, v[98:99]
	v_add_co_u32_e64 v75, s[2:3], s12, v98
	v_addc_co_u32_e64 v81, s[2:3], v118, v99, s[2:3]
	v_add_co_u32_e64 v106, s[2:3], s6, v75
	v_addc_co_u32_e64 v107, s[2:3], 0, v81, s[2:3]
	;; [unrolled: 2-line block ×3, first 2 shown]
	global_load_dwordx4 v[98:101], v[108:109], off offset:464
	global_load_dwordx4 v[102:105], v[106:107], off offset:16
	v_add_u32_e32 v106, 0x144, v78
	v_mov_b32_e32 v107, v79
	v_lshlrev_b64 v[106:107], 4, v[106:107]
	v_add_u32_e32 v78, 0x1b0, v78
	v_add_co_u32_e64 v75, s[2:3], s12, v106
	v_addc_co_u32_e64 v81, s[2:3], v118, v107, s[2:3]
	v_add_co_u32_e64 v114, s[2:3], s6, v75
	v_addc_co_u32_e64 v115, s[2:3], 0, v81, s[2:3]
	;; [unrolled: 2-line block ×3, first 2 shown]
	global_load_dwordx4 v[106:109], v[116:117], off offset:464
	global_load_dwordx4 v[110:113], v[114:115], off offset:16
	v_lshlrev_b64 v[114:115], 4, v[78:79]
	v_add_co_u32_e64 v75, s[2:3], s12, v114
	v_addc_co_u32_e64 v78, s[2:3], v118, v115, s[2:3]
	v_add_co_u32_e64 v114, s[2:3], s14, v75
	v_addc_co_u32_e64 v115, s[2:3], 0, v78, s[2:3]
	;; [unrolled: 2-line block ×3, first 2 shown]
	global_load_dwordx4 v[114:117], v[114:115], off offset:464
	s_mov_b32 s2, 0xe8584caa
	global_load_dwordx4 v[118:121], v[118:119], off offset:16
	s_mov_b32 s3, 0xbfebb67a
	s_mov_b32 s6, s2
	s_waitcnt lgkmcnt(0)
	; wave barrier
	s_waitcnt vmcnt(9) lgkmcnt(0)
	v_mul_f64 v[122:123], v[54:55], v[84:85]
	v_mul_f64 v[84:85], v[52:53], v[84:85]
	s_waitcnt vmcnt(8)
	v_mul_f64 v[124:125], v[46:47], v[88:89]
	v_mul_f64 v[88:89], v[44:45], v[88:89]
	v_fma_f64 v[52:53], v[52:53], v[82:83], v[122:123]
	v_fma_f64 v[54:55], v[54:55], v[82:83], -v[84:85]
	v_fma_f64 v[44:45], v[44:45], v[86:87], v[124:125]
	v_fma_f64 v[46:47], v[46:47], v[86:87], -v[88:89]
	s_waitcnt vmcnt(7)
	v_mul_f64 v[126:127], v[62:63], v[92:93]
	s_waitcnt vmcnt(6)
	v_mul_f64 v[81:82], v[50:51], v[96:97]
	v_mul_f64 v[92:93], v[60:61], v[92:93]
	;; [unrolled: 1-line block ×3, first 2 shown]
	v_fma_f64 v[60:61], v[60:61], v[90:91], v[126:127]
	v_fma_f64 v[48:49], v[48:49], v[94:95], v[81:82]
	v_fma_f64 v[62:63], v[62:63], v[90:91], -v[92:93]
	v_fma_f64 v[50:51], v[50:51], v[94:95], -v[83:84]
	s_waitcnt vmcnt(5)
	v_mul_f64 v[85:86], v[66:67], v[100:101]
	s_waitcnt vmcnt(4)
	v_mul_f64 v[81:82], v[58:59], v[104:105]
	v_mul_f64 v[87:88], v[64:65], v[100:101]
	;; [unrolled: 1-line block ×3, first 2 shown]
	v_fma_f64 v[64:65], v[64:65], v[98:99], v[85:86]
	v_fma_f64 v[56:57], v[56:57], v[102:103], v[81:82]
	v_fma_f64 v[66:67], v[66:67], v[98:99], -v[87:88]
	v_fma_f64 v[58:59], v[58:59], v[102:103], -v[89:90]
	v_add_f64 v[87:88], v[52:53], v[44:45]
	s_waitcnt vmcnt(3)
	v_mul_f64 v[91:92], v[70:71], v[108:109]
	v_mul_f64 v[83:84], v[68:69], v[108:109]
	s_waitcnt vmcnt(2)
	v_mul_f64 v[81:82], v[32:33], v[112:113]
	v_mul_f64 v[85:86], v[34:35], v[112:113]
	v_fma_f64 v[68:69], v[68:69], v[106:107], v[91:92]
	v_fma_f64 v[70:71], v[70:71], v[106:107], -v[83:84]
	v_fma_f64 v[81:82], v[34:35], v[110:111], -v[81:82]
	v_add_f64 v[34:35], v[28:29], v[52:53]
	v_fma_f64 v[85:86], v[32:33], v[110:111], v[85:86]
	s_waitcnt vmcnt(1)
	v_mul_f64 v[83:84], v[42:43], v[116:117]
	v_mul_f64 v[32:33], v[40:41], v[116:117]
	s_waitcnt vmcnt(0)
	v_mul_f64 v[89:90], v[38:39], v[120:121]
	v_mul_f64 v[91:92], v[36:37], v[120:121]
	v_add_f64 v[95:96], v[70:71], -v[81:82]
	v_fma_f64 v[83:84], v[40:41], v[114:115], v[83:84]
	v_fma_f64 v[40:41], v[87:88], -0.5, v[28:29]
	v_add_f64 v[87:88], v[54:55], -v[46:47]
	v_fma_f64 v[89:90], v[36:37], v[118:119], v[89:90]
	v_fma_f64 v[91:92], v[38:39], v[118:119], -v[91:92]
	v_add_f64 v[36:37], v[54:55], v[46:47]
	v_add_f64 v[28:29], v[34:35], v[44:45]
	;; [unrolled: 1-line block ×4, first 2 shown]
	v_fma_f64 v[93:94], v[42:43], v[114:115], -v[32:33]
	v_fma_f64 v[32:33], v[87:88], s[2:3], v[40:41]
	v_add_f64 v[44:45], v[52:53], -v[44:45]
	v_add_f64 v[54:55], v[62:63], -v[50:51]
	v_fma_f64 v[42:43], v[36:37], -0.5, v[30:31]
	v_fma_f64 v[36:37], v[87:88], s[6:7], v[40:41]
	v_add_f64 v[40:41], v[24:25], v[60:61]
	v_add_f64 v[30:31], v[34:35], v[46:47]
	;; [unrolled: 1-line block ×3, first 2 shown]
	v_fma_f64 v[52:53], v[38:39], -0.5, v[24:25]
	v_add_f64 v[62:63], v[26:27], v[62:63]
	v_fma_f64 v[34:35], v[44:45], s[6:7], v[42:43]
	v_fma_f64 v[38:39], v[44:45], s[2:3], v[42:43]
	v_add_f64 v[24:25], v[40:41], v[48:49]
	v_add_f64 v[42:43], v[64:65], v[56:57]
	v_fma_f64 v[46:47], v[46:47], -0.5, v[26:27]
	v_fma_f64 v[40:41], v[54:55], s[2:3], v[52:53]
	v_fma_f64 v[44:45], v[54:55], s[6:7], v[52:53]
	v_add_f64 v[26:27], v[62:63], v[50:51]
	v_add_f64 v[50:51], v[66:67], v[58:59]
	;; [unrolled: 1-line block ×4, first 2 shown]
	v_add_f64 v[48:49], v[60:61], -v[48:49]
	v_fma_f64 v[54:55], v[42:43], -0.5, v[20:21]
	v_add_f64 v[60:61], v[66:67], -v[58:59]
	v_add_f64 v[66:67], v[22:23], v[66:67]
	v_add_f64 v[64:65], v[64:65], -v[56:57]
	v_fma_f64 v[87:88], v[50:51], -0.5, v[22:23]
	v_add_f64 v[20:21], v[52:53], v[56:57]
	v_add_f64 v[56:57], v[12:13], v[68:69]
	v_fma_f64 v[62:63], v[62:63], -0.5, v[12:13]
	v_fma_f64 v[42:43], v[48:49], s[6:7], v[46:47]
	v_fma_f64 v[46:47], v[48:49], s[2:3], v[46:47]
	;; [unrolled: 1-line block ×4, first 2 shown]
	v_add_f64 v[22:23], v[66:67], v[58:59]
	v_fma_f64 v[50:51], v[64:65], s[6:7], v[87:88]
	v_add_f64 v[58:59], v[70:71], v[81:82]
	v_fma_f64 v[54:55], v[64:65], s[2:3], v[87:88]
	v_add_f64 v[12:13], v[56:57], v[85:86]
	v_add_f64 v[64:65], v[83:84], v[89:90]
	v_fma_f64 v[56:57], v[95:96], s[2:3], v[62:63]
	v_fma_f64 v[60:61], v[95:96], s[6:7], v[62:63]
	v_add_f64 v[62:63], v[93:94], v[91:92]
	v_add_f64 v[66:67], v[14:15], v[70:71]
	v_fma_f64 v[70:71], v[58:59], -0.5, v[14:15]
	v_add_f64 v[68:69], v[68:69], -v[85:86]
	v_add_f64 v[85:86], v[16:17], v[83:84]
	v_fma_f64 v[87:88], v[64:65], -0.5, v[16:17]
	v_add_f64 v[95:96], v[93:94], -v[91:92]
	;; [unrolled: 3-line block ×3, first 2 shown]
	v_add_f64 v[14:15], v[66:67], v[81:82]
	v_fma_f64 v[58:59], v[68:69], s[6:7], v[70:71]
	v_fma_f64 v[62:63], v[68:69], s[2:3], v[70:71]
	v_add_f64 v[16:17], v[85:86], v[89:90]
	v_fma_f64 v[64:65], v[95:96], s[2:3], v[87:88]
	v_fma_f64 v[68:69], v[95:96], s[6:7], v[87:88]
	;; [unrolled: 3-line block ×3, first 2 shown]
	ds_write_b128 v80, v[28:31]
	ds_write_b128 v80, v[32:35] offset:4608
	ds_write_b128 v80, v[36:39] offset:9216
	;; [unrolled: 1-line block ×14, first 2 shown]
	s_and_saveexec_b64 s[8:9], vcc
	s_cbranch_execz .LBB0_29
; %bb.28:
	v_not_b32_e32 v12, 17
	v_mov_b32_e32 v13, 0x10e
	v_cndmask_b32_e32 v12, v12, v13, vcc
	v_add_lshl_u32 v78, v74, v12, 1
	v_lshlrev_b64 v[12:13], 4, v[78:79]
	v_mov_b32_e32 v14, s13
	v_add_co_u32_e32 v12, vcc, s12, v12
	v_addc_co_u32_e32 v13, vcc, v14, v13, vcc
	v_add_co_u32_e32 v20, vcc, 0x11d0, v12
	v_addc_co_u32_e32 v21, vcc, 0, v13, vcc
	;; [unrolled: 2-line block ×3, first 2 shown]
	global_load_dwordx4 v[12:15], v[22:23], off offset:464
	global_load_dwordx4 v[16:19], v[20:21], off offset:16
	s_waitcnt vmcnt(1)
	v_mul_f64 v[20:21], v[0:1], v[14:15]
	s_waitcnt vmcnt(0)
	v_mul_f64 v[22:23], v[4:5], v[18:19]
	v_mul_f64 v[14:15], v[2:3], v[14:15]
	;; [unrolled: 1-line block ×3, first 2 shown]
	v_fma_f64 v[2:3], v[2:3], v[12:13], -v[20:21]
	v_fma_f64 v[6:7], v[6:7], v[16:17], -v[22:23]
	v_fma_f64 v[0:1], v[0:1], v[12:13], v[14:15]
	v_fma_f64 v[4:5], v[4:5], v[16:17], v[18:19]
	v_add_f64 v[18:19], v[10:11], v[2:3]
	v_add_f64 v[12:13], v[2:3], v[6:7]
	;; [unrolled: 1-line block ×3, first 2 shown]
	v_add_f64 v[16:17], v[0:1], -v[4:5]
	v_add_f64 v[0:1], v[8:9], v[0:1]
	v_fma_f64 v[10:11], v[12:13], -0.5, v[10:11]
	v_add_f64 v[12:13], v[2:3], -v[6:7]
	v_fma_f64 v[14:15], v[14:15], -0.5, v[8:9]
	v_add_f64 v[2:3], v[18:19], v[6:7]
	v_add_f64 v[0:1], v[0:1], v[4:5]
	v_fma_f64 v[6:7], v[16:17], s[2:3], v[10:11]
	v_fma_f64 v[10:11], v[16:17], s[6:7], v[10:11]
	;; [unrolled: 1-line block ×4, first 2 shown]
	ds_write_b128 v80, v[0:3] offset:4320
	ds_write_b128 v80, v[8:11] offset:8928
	;; [unrolled: 1-line block ×3, first 2 shown]
.LBB0_29:
	s_or_b64 exec, exec, s[8:9]
	s_waitcnt lgkmcnt(0)
	; wave barrier
	s_waitcnt lgkmcnt(0)
	s_and_saveexec_b64 s[2:3], s[0:1]
	s_cbranch_execz .LBB0_31
; %bb.30:
	v_mul_lo_u32 v0, s5, v76
	v_mul_lo_u32 v1, s4, v77
	v_mad_u64_u32 v[4:5], s[0:1], s4, v76, 0
	v_mov_b32_e32 v6, s11
	v_lshl_add_u32 v10, v74, 4, 0
	v_add3_u32 v5, v5, v1, v0
	v_lshlrev_b64 v[4:5], 4, v[4:5]
	v_mov_b32_e32 v75, 0
	v_add_co_u32_e32 v7, vcc, s10, v4
	v_addc_co_u32_e32 v6, vcc, v6, v5, vcc
	v_lshlrev_b64 v[4:5], 4, v[72:73]
	ds_read_b128 v[0:3], v10
	v_add_co_u32_e32 v11, vcc, v7, v4
	v_addc_co_u32_e32 v12, vcc, v6, v5, vcc
	v_lshlrev_b64 v[4:5], 4, v[74:75]
	v_add_co_u32_e32 v8, vcc, v11, v4
	v_addc_co_u32_e32 v9, vcc, v12, v5, vcc
	ds_read_b128 v[4:7], v10 offset:864
	s_waitcnt lgkmcnt(1)
	global_store_dwordx4 v[8:9], v[0:3], off
	s_nop 0
	v_add_u32_e32 v0, 54, v74
	v_mov_b32_e32 v1, v75
	v_lshlrev_b64 v[0:1], 4, v[0:1]
	v_add_co_u32_e32 v0, vcc, v11, v0
	v_addc_co_u32_e32 v1, vcc, v12, v1, vcc
	s_waitcnt lgkmcnt(0)
	global_store_dwordx4 v[0:1], v[4:7], off
	ds_read_b128 v[0:3], v10 offset:1728
	v_add_u32_e32 v4, 0x6c, v74
	v_mov_b32_e32 v5, v75
	v_lshlrev_b64 v[4:5], 4, v[4:5]
	v_add_co_u32_e32 v8, vcc, v11, v4
	v_addc_co_u32_e32 v9, vcc, v12, v5, vcc
	ds_read_b128 v[4:7], v10 offset:2592
	s_waitcnt lgkmcnt(1)
	global_store_dwordx4 v[8:9], v[0:3], off
	s_nop 0
	v_add_u32_e32 v0, 0xa2, v74
	v_mov_b32_e32 v1, v75
	v_lshlrev_b64 v[0:1], 4, v[0:1]
	v_add_co_u32_e32 v0, vcc, v11, v0
	v_addc_co_u32_e32 v1, vcc, v12, v1, vcc
	s_waitcnt lgkmcnt(0)
	global_store_dwordx4 v[0:1], v[4:7], off
	ds_read_b128 v[0:3], v10 offset:3456
	v_add_u32_e32 v4, 0xd8, v74
	v_mov_b32_e32 v5, v75
	;; [unrolled: 17-line block ×7, first 2 shown]
	v_lshlrev_b64 v[4:5], 4, v[4:5]
	v_add_u32_e32 v74, 0x32a, v74
	v_add_co_u32_e32 v8, vcc, v11, v4
	v_addc_co_u32_e32 v9, vcc, v12, v5, vcc
	ds_read_b128 v[4:7], v10 offset:12960
	s_waitcnt lgkmcnt(1)
	global_store_dwordx4 v[8:9], v[0:3], off
	s_nop 0
	v_lshlrev_b64 v[0:1], 4, v[74:75]
	v_add_co_u32_e32 v0, vcc, v11, v0
	v_addc_co_u32_e32 v1, vcc, v12, v1, vcc
	s_waitcnt lgkmcnt(0)
	global_store_dwordx4 v[0:1], v[4:7], off
.LBB0_31:
	s_endpgm
	.section	.rodata,"a",@progbits
	.p2align	6, 0x0
	.amdhsa_kernel fft_rtc_back_len864_factors_3_6_16_3_wgs_54_tpt_54_halfLds_dp_op_CI_CI_unitstride_sbrr_C2R_dirReg
		.amdhsa_group_segment_fixed_size 0
		.amdhsa_private_segment_fixed_size 0
		.amdhsa_kernarg_size 104
		.amdhsa_user_sgpr_count 6
		.amdhsa_user_sgpr_private_segment_buffer 1
		.amdhsa_user_sgpr_dispatch_ptr 0
		.amdhsa_user_sgpr_queue_ptr 0
		.amdhsa_user_sgpr_kernarg_segment_ptr 1
		.amdhsa_user_sgpr_dispatch_id 0
		.amdhsa_user_sgpr_flat_scratch_init 0
		.amdhsa_user_sgpr_private_segment_size 0
		.amdhsa_uses_dynamic_stack 0
		.amdhsa_system_sgpr_private_segment_wavefront_offset 0
		.amdhsa_system_sgpr_workgroup_id_x 1
		.amdhsa_system_sgpr_workgroup_id_y 0
		.amdhsa_system_sgpr_workgroup_id_z 0
		.amdhsa_system_sgpr_workgroup_info 0
		.amdhsa_system_vgpr_workitem_id 0
		.amdhsa_next_free_vgpr 138
		.amdhsa_next_free_sgpr 28
		.amdhsa_reserve_vcc 1
		.amdhsa_reserve_flat_scratch 0
		.amdhsa_float_round_mode_32 0
		.amdhsa_float_round_mode_16_64 0
		.amdhsa_float_denorm_mode_32 3
		.amdhsa_float_denorm_mode_16_64 3
		.amdhsa_dx10_clamp 1
		.amdhsa_ieee_mode 1
		.amdhsa_fp16_overflow 0
		.amdhsa_exception_fp_ieee_invalid_op 0
		.amdhsa_exception_fp_denorm_src 0
		.amdhsa_exception_fp_ieee_div_zero 0
		.amdhsa_exception_fp_ieee_overflow 0
		.amdhsa_exception_fp_ieee_underflow 0
		.amdhsa_exception_fp_ieee_inexact 0
		.amdhsa_exception_int_div_zero 0
	.end_amdhsa_kernel
	.text
.Lfunc_end0:
	.size	fft_rtc_back_len864_factors_3_6_16_3_wgs_54_tpt_54_halfLds_dp_op_CI_CI_unitstride_sbrr_C2R_dirReg, .Lfunc_end0-fft_rtc_back_len864_factors_3_6_16_3_wgs_54_tpt_54_halfLds_dp_op_CI_CI_unitstride_sbrr_C2R_dirReg
                                        ; -- End function
	.section	.AMDGPU.csdata,"",@progbits
; Kernel info:
; codeLenInByte = 11628
; NumSgprs: 32
; NumVgprs: 138
; ScratchSize: 0
; MemoryBound: 0
; FloatMode: 240
; IeeeMode: 1
; LDSByteSize: 0 bytes/workgroup (compile time only)
; SGPRBlocks: 3
; VGPRBlocks: 34
; NumSGPRsForWavesPerEU: 32
; NumVGPRsForWavesPerEU: 138
; Occupancy: 1
; WaveLimiterHint : 1
; COMPUTE_PGM_RSRC2:SCRATCH_EN: 0
; COMPUTE_PGM_RSRC2:USER_SGPR: 6
; COMPUTE_PGM_RSRC2:TRAP_HANDLER: 0
; COMPUTE_PGM_RSRC2:TGID_X_EN: 1
; COMPUTE_PGM_RSRC2:TGID_Y_EN: 0
; COMPUTE_PGM_RSRC2:TGID_Z_EN: 0
; COMPUTE_PGM_RSRC2:TIDIG_COMP_CNT: 0
	.type	__hip_cuid_cd706c58465ce18e,@object ; @__hip_cuid_cd706c58465ce18e
	.section	.bss,"aw",@nobits
	.globl	__hip_cuid_cd706c58465ce18e
__hip_cuid_cd706c58465ce18e:
	.byte	0                               ; 0x0
	.size	__hip_cuid_cd706c58465ce18e, 1

	.ident	"AMD clang version 19.0.0git (https://github.com/RadeonOpenCompute/llvm-project roc-6.4.0 25133 c7fe45cf4b819c5991fe208aaa96edf142730f1d)"
	.section	".note.GNU-stack","",@progbits
	.addrsig
	.addrsig_sym __hip_cuid_cd706c58465ce18e
	.amdgpu_metadata
---
amdhsa.kernels:
  - .args:
      - .actual_access:  read_only
        .address_space:  global
        .offset:         0
        .size:           8
        .value_kind:     global_buffer
      - .offset:         8
        .size:           8
        .value_kind:     by_value
      - .actual_access:  read_only
        .address_space:  global
        .offset:         16
        .size:           8
        .value_kind:     global_buffer
      - .actual_access:  read_only
        .address_space:  global
        .offset:         24
        .size:           8
        .value_kind:     global_buffer
      - .actual_access:  read_only
        .address_space:  global
        .offset:         32
        .size:           8
        .value_kind:     global_buffer
      - .offset:         40
        .size:           8
        .value_kind:     by_value
      - .actual_access:  read_only
        .address_space:  global
        .offset:         48
        .size:           8
        .value_kind:     global_buffer
      - .actual_access:  read_only
        .address_space:  global
        .offset:         56
        .size:           8
        .value_kind:     global_buffer
      - .offset:         64
        .size:           4
        .value_kind:     by_value
      - .actual_access:  read_only
        .address_space:  global
        .offset:         72
        .size:           8
        .value_kind:     global_buffer
      - .actual_access:  read_only
        .address_space:  global
        .offset:         80
        .size:           8
        .value_kind:     global_buffer
      - .actual_access:  read_only
        .address_space:  global
        .offset:         88
        .size:           8
        .value_kind:     global_buffer
      - .actual_access:  write_only
        .address_space:  global
        .offset:         96
        .size:           8
        .value_kind:     global_buffer
    .group_segment_fixed_size: 0
    .kernarg_segment_align: 8
    .kernarg_segment_size: 104
    .language:       OpenCL C
    .language_version:
      - 2
      - 0
    .max_flat_workgroup_size: 54
    .name:           fft_rtc_back_len864_factors_3_6_16_3_wgs_54_tpt_54_halfLds_dp_op_CI_CI_unitstride_sbrr_C2R_dirReg
    .private_segment_fixed_size: 0
    .sgpr_count:     32
    .sgpr_spill_count: 0
    .symbol:         fft_rtc_back_len864_factors_3_6_16_3_wgs_54_tpt_54_halfLds_dp_op_CI_CI_unitstride_sbrr_C2R_dirReg.kd
    .uniform_work_group_size: 1
    .uses_dynamic_stack: false
    .vgpr_count:     138
    .vgpr_spill_count: 0
    .wavefront_size: 64
amdhsa.target:   amdgcn-amd-amdhsa--gfx906
amdhsa.version:
  - 1
  - 2
...

	.end_amdgpu_metadata
